;; amdgpu-corpus repo=ROCm/rocFFT kind=compiled arch=gfx1201 opt=O3
	.text
	.amdgcn_target "amdgcn-amd-amdhsa--gfx1201"
	.amdhsa_code_object_version 6
	.protected	bluestein_single_back_len800_dim1_dp_op_CI_CI ; -- Begin function bluestein_single_back_len800_dim1_dp_op_CI_CI
	.globl	bluestein_single_back_len800_dim1_dp_op_CI_CI
	.p2align	8
	.type	bluestein_single_back_len800_dim1_dp_op_CI_CI,@function
bluestein_single_back_len800_dim1_dp_op_CI_CI: ; @bluestein_single_back_len800_dim1_dp_op_CI_CI
; %bb.0:
	s_load_b128 s[8:11], s[0:1], 0x28
	v_mul_u32_u24_e32 v1, 0x19a, v0
	s_mov_b32 s2, exec_lo
	v_mov_b32_e32 v121, 0
	s_delay_alu instid0(VALU_DEP_2) | instskip(NEXT) | instid1(VALU_DEP_1)
	v_lshrrev_b32_e32 v1, 16, v1
	v_add_nc_u32_e32 v120, ttmp9, v1
	s_wait_kmcnt 0x0
	s_delay_alu instid0(VALU_DEP_1)
	v_cmpx_gt_u64_e64 s[8:9], v[120:121]
	s_cbranch_execz .LBB0_23
; %bb.1:
	s_clause 0x1
	s_load_b64 s[8:9], s[0:1], 0x0
	s_load_b64 s[12:13], s[0:1], 0x38
	v_mul_lo_u16 v1, 0xa0, v1
	s_delay_alu instid0(VALU_DEP_1) | instskip(NEXT) | instid1(VALU_DEP_1)
	v_sub_nc_u16 v0, v0, v1
	v_and_b32_e32 v134, 0xffff, v0
	v_cmp_gt_u16_e32 vcc_lo, 50, v0
	s_delay_alu instid0(VALU_DEP_2)
	v_lshlrev_b32_e32 v133, 4, v134
	s_and_saveexec_b32 s3, vcc_lo
	s_cbranch_execz .LBB0_3
; %bb.2:
	s_load_b64 s[4:5], s[0:1], 0x18
	s_wait_kmcnt 0x0
	s_load_b128 s[4:7], s[4:5], 0x0
	s_wait_kmcnt 0x0
	v_mad_co_u64_u32 v[8:9], null, s6, v120, 0
	v_mad_co_u64_u32 v[24:25], null, s4, v134, 0
	s_delay_alu instid0(VALU_DEP_1) | instskip(NEXT) | instid1(VALU_DEP_1)
	v_dual_mov_b32 v0, v9 :: v_dual_mov_b32 v1, v25
	v_mad_co_u64_u32 v[2:3], null, s7, v120, v[0:1]
	s_delay_alu instid0(VALU_DEP_1)
	v_mad_co_u64_u32 v[10:11], null, s5, v134, v[1:2]
	v_mov_b32_e32 v9, v2
	s_mul_u64 s[4:5], s[4:5], 0x320
	s_clause 0x1
	global_load_b128 v[0:3], v133, s[8:9]
	global_load_b128 v[4:7], v133, s[8:9] offset:800
	v_lshlrev_b64_e32 v[26:27], 4, v[8:9]
	v_mov_b32_e32 v25, v10
	s_clause 0x3
	global_load_b128 v[8:11], v133, s[8:9] offset:1600
	global_load_b128 v[12:15], v133, s[8:9] offset:2400
	;; [unrolled: 1-line block ×4, first 2 shown]
	v_add_co_u32 v34, s2, s10, v26
	v_lshlrev_b64_e32 v[32:33], 4, v[24:25]
	v_add_co_ci_u32_e64 v35, s2, s11, v27, s2
	s_clause 0x1
	global_load_b128 v[24:27], v133, s[8:9] offset:4800
	global_load_b128 v[28:31], v133, s[8:9] offset:5600
	v_add_co_u32 v56, s2, v34, v32
	s_wait_alu 0xf1ff
	v_add_co_ci_u32_e64 v57, s2, v35, v33, s2
	s_clause 0x1
	global_load_b128 v[32:35], v133, s[8:9] offset:6400
	global_load_b128 v[36:39], v133, s[8:9] offset:7200
	s_wait_alu 0xfffe
	v_add_co_u32 v60, s2, v56, s4
	s_wait_alu 0xf1ff
	v_add_co_ci_u32_e64 v61, s2, s5, v57, s2
	s_clause 0x1
	global_load_b128 v[40:43], v133, s[8:9] offset:8000
	global_load_b128 v[44:47], v133, s[8:9] offset:8800
	v_add_co_u32 v64, s2, v60, s4
	s_wait_alu 0xf1ff
	v_add_co_ci_u32_e64 v65, s2, s5, v61, s2
	s_clause 0x1
	global_load_b128 v[48:51], v133, s[8:9] offset:9600
	global_load_b128 v[52:55], v133, s[8:9] offset:10400
	v_add_co_u32 v68, s2, v64, s4
	s_wait_alu 0xf1ff
	v_add_co_ci_u32_e64 v69, s2, s5, v65, s2
	s_clause 0x1
	global_load_b128 v[56:59], v[56:57], off
	global_load_b128 v[60:63], v[60:61], off
	v_add_co_u32 v72, s2, v68, s4
	s_wait_alu 0xf1ff
	v_add_co_ci_u32_e64 v73, s2, s5, v69, s2
	s_clause 0x1
	global_load_b128 v[64:67], v[64:65], off
	global_load_b128 v[68:71], v[68:69], off
	v_add_co_u32 v76, s2, v72, s4
	s_wait_alu 0xf1ff
	v_add_co_ci_u32_e64 v77, s2, s5, v73, s2
	global_load_b128 v[72:75], v[72:73], off
	v_add_co_u32 v80, s2, v76, s4
	s_wait_alu 0xf1ff
	v_add_co_ci_u32_e64 v81, s2, s5, v77, s2
	;; [unrolled: 4-line block ×10, first 2 shown]
	s_delay_alu instid0(VALU_DEP_2) | instskip(SKIP_1) | instid1(VALU_DEP_2)
	v_add_co_u32 v125, s2, v112, s4
	s_wait_alu 0xf1ff
	v_add_co_ci_u32_e64 v126, s2, s5, v113, s2
	global_load_b128 v[108:111], v[108:109], off
	global_load_b128 v[112:115], v[112:113], off
	s_clause 0x1
	global_load_b128 v[116:119], v133, s[8:9] offset:11200
	global_load_b128 v[121:124], v133, s[8:9] offset:12000
	global_load_b128 v[125:128], v[125:126], off
	s_wait_loadcnt 0x11
	v_mul_f64_e32 v[129:130], v[58:59], v[2:3]
	v_mul_f64_e32 v[2:3], v[56:57], v[2:3]
	s_wait_loadcnt 0x10
	v_mul_f64_e32 v[131:132], v[62:63], v[6:7]
	v_mul_f64_e32 v[6:7], v[60:61], v[6:7]
	;; [unrolled: 3-line block ×16, first 2 shown]
	v_fma_f64 v[54:55], v[56:57], v[0:1], v[129:130]
	v_fma_f64 v[56:57], v[58:59], v[0:1], -v[2:3]
	v_fma_f64 v[0:1], v[60:61], v[4:5], v[131:132]
	v_fma_f64 v[2:3], v[62:63], v[4:5], -v[6:7]
	;; [unrolled: 2-line block ×16, first 2 shown]
	ds_store_b128 v133, v[54:57]
	ds_store_b128 v133, v[0:3] offset:800
	ds_store_b128 v133, v[4:7] offset:1600
	;; [unrolled: 1-line block ×15, first 2 shown]
.LBB0_3:
	s_or_b32 exec_lo, exec_lo, s3
	s_clause 0x1
	s_load_b64 s[4:5], s[0:1], 0x20
	s_load_b64 s[2:3], s[0:1], 0x8
	global_wb scope:SCOPE_SE
	s_wait_dscnt 0x0
	s_wait_kmcnt 0x0
	s_barrier_signal -1
	s_barrier_wait -1
	global_inv scope:SCOPE_SE
                                        ; implicit-def: $vgpr0_vgpr1
                                        ; implicit-def: $vgpr16_vgpr17
                                        ; implicit-def: $vgpr32_vgpr33
                                        ; implicit-def: $vgpr56_vgpr57
                                        ; implicit-def: $vgpr60_vgpr61
                                        ; implicit-def: $vgpr48_vgpr49
                                        ; implicit-def: $vgpr52_vgpr53
                                        ; implicit-def: $vgpr40_vgpr41
                                        ; implicit-def: $vgpr44_vgpr45
                                        ; implicit-def: $vgpr36_vgpr37
                                        ; implicit-def: $vgpr28_vgpr29
                                        ; implicit-def: $vgpr24_vgpr25
                                        ; implicit-def: $vgpr20_vgpr21
                                        ; implicit-def: $vgpr12_vgpr13
                                        ; implicit-def: $vgpr8_vgpr9
                                        ; implicit-def: $vgpr4_vgpr5
	s_and_saveexec_b32 s0, vcc_lo
	s_cbranch_execz .LBB0_5
; %bb.4:
	ds_load_b128 v[0:3], v133
	ds_load_b128 v[4:7], v133 offset:800
	ds_load_b128 v[8:11], v133 offset:1600
	;; [unrolled: 1-line block ×15, first 2 shown]
.LBB0_5:
	s_wait_alu 0xfffe
	s_or_b32 exec_lo, exec_lo, s0
	s_wait_dscnt 0x7
	v_add_f64_e64 v[36:37], v[0:1], -v[36:37]
	v_add_f64_e64 v[38:39], v[2:3], -v[38:39]
	s_wait_dscnt 0x3
	v_add_f64_e64 v[52:53], v[20:21], -v[52:53]
	v_add_f64_e64 v[54:55], v[22:23], -v[54:55]
	v_add_f64_e64 v[44:45], v[8:9], -v[44:45]
	v_add_f64_e64 v[46:47], v[10:11], -v[46:47]
	s_wait_dscnt 0x1
	v_add_f64_e64 v[60:61], v[16:17], -v[60:61]
	v_add_f64_e64 v[62:63], v[18:19], -v[62:63]
	;; [unrolled: 1-line block ×8, first 2 shown]
	s_wait_dscnt 0x0
	v_add_f64_e64 v[58:59], v[30:31], -v[58:59]
	v_add_f64_e64 v[56:57], v[28:29], -v[56:57]
	s_mov_b32 s0, 0x667f3bcd
	s_mov_b32 s1, 0xbfe6a09e
	s_mov_b32 s7, 0x3fe6a09e
	s_wait_alu 0xfffe
	s_mov_b32 s6, s0
	s_mov_b32 s10, 0xcf328d46
	;; [unrolled: 1-line block ×8, first 2 shown]
	s_wait_alu 0xfffe
	s_mov_b32 s18, s10
	v_lshlrev_b16 v135, 4, v134
	global_wb scope:SCOPE_SE
	s_barrier_signal -1
	s_barrier_wait -1
	global_inv scope:SCOPE_SE
	v_fma_f64 v[0:1], v[0:1], 2.0, -v[36:37]
	v_fma_f64 v[2:3], v[2:3], 2.0, -v[38:39]
	v_add_f64_e32 v[66:67], v[38:39], v[52:53]
	v_add_f64_e64 v[64:65], v[36:37], -v[54:55]
	v_fma_f64 v[20:21], v[20:21], 2.0, -v[52:53]
	v_fma_f64 v[22:23], v[22:23], 2.0, -v[54:55]
	v_add_f64_e32 v[70:71], v[60:61], v[46:47]
	v_add_f64_e64 v[68:69], v[44:45], -v[62:63]
	;; [unrolled: 4-line block ×3, first 2 shown]
	v_fma_f64 v[16:17], v[16:17], 2.0, -v[60:61]
	v_fma_f64 v[18:19], v[18:19], 2.0, -v[62:63]
	v_add_f64_e64 v[76:77], v[40:41], -v[58:59]
	v_add_f64_e32 v[78:79], v[56:57], v[42:43]
	v_fma_f64 v[4:5], v[4:5], 2.0, -v[32:33]
	v_fma_f64 v[6:7], v[6:7], 2.0, -v[34:35]
	v_fma_f64 v[24:25], v[24:25], 2.0, -v[48:49]
	v_fma_f64 v[26:27], v[26:27], 2.0, -v[50:51]
	v_fma_f64 v[12:13], v[12:13], 2.0, -v[40:41]
	v_fma_f64 v[14:15], v[14:15], 2.0, -v[42:43]
	v_fma_f64 v[28:29], v[28:29], 2.0, -v[56:57]
	v_fma_f64 v[30:31], v[30:31], 2.0, -v[58:59]
	v_fma_f64 v[38:39], v[38:39], 2.0, -v[66:67]
	v_fma_f64 v[36:37], v[36:37], 2.0, -v[64:65]
	v_add_f64_e64 v[20:21], v[0:1], -v[20:21]
	v_add_f64_e64 v[22:23], v[2:3], -v[22:23]
	v_fma_f64 v[46:47], v[46:47], 2.0, -v[70:71]
	v_fma_f64 v[44:45], v[44:45], 2.0, -v[68:69]
	v_fma_f64 v[48:49], v[68:69], s[6:7], v[64:65]
	v_fma_f64 v[50:51], v[70:71], s[6:7], v[66:67]
	v_fma_f64 v[34:35], v[34:35], 2.0, -v[74:75]
	v_fma_f64 v[32:33], v[32:33], 2.0, -v[72:73]
	v_add_f64_e64 v[16:17], v[8:9], -v[16:17]
	v_add_f64_e64 v[18:19], v[10:11], -v[18:19]
	v_fma_f64 v[40:41], v[40:41], 2.0, -v[76:77]
	v_fma_f64 v[42:43], v[42:43], 2.0, -v[78:79]
	v_fma_f64 v[52:53], v[76:77], s[6:7], v[72:73]
	v_fma_f64 v[54:55], v[78:79], s[6:7], v[74:75]
	v_add_f64_e64 v[24:25], v[4:5], -v[24:25]
	v_add_f64_e64 v[26:27], v[6:7], -v[26:27]
	;; [unrolled: 1-line block ×4, first 2 shown]
	v_fma_f64 v[80:81], v[0:1], 2.0, -v[20:21]
	v_fma_f64 v[82:83], v[2:3], 2.0, -v[22:23]
	v_fma_f64 v[58:59], v[46:47], s[0:1], v[38:39]
	v_fma_f64 v[56:57], v[44:45], s[0:1], v[36:37]
	;; [unrolled: 1-line block ×4, first 2 shown]
	v_fma_f64 v[0:1], v[8:9], 2.0, -v[16:17]
	v_fma_f64 v[2:3], v[10:11], 2.0, -v[18:19]
	v_fma_f64 v[60:61], v[40:41], s[0:1], v[32:33]
	v_fma_f64 v[62:63], v[42:43], s[0:1], v[34:35]
	v_add_f64_e64 v[88:89], v[20:21], -v[18:19]
	v_add_f64_e32 v[90:91], v[22:23], v[16:17]
	v_fma_f64 v[84:85], v[4:5], 2.0, -v[24:25]
	v_fma_f64 v[86:87], v[6:7], 2.0, -v[26:27]
	v_fma_f64 v[52:53], v[78:79], s[0:1], v[52:53]
	v_fma_f64 v[54:55], v[76:77], s[6:7], v[54:55]
	v_fma_f64 v[6:7], v[12:13], 2.0, -v[28:29]
	v_fma_f64 v[10:11], v[14:15], 2.0, -v[30:31]
	v_add_f64_e64 v[30:31], v[24:25], -v[30:31]
	v_add_f64_e32 v[28:29], v[28:29], v[26:27]
	v_fma_f64 v[44:45], v[44:45], s[6:7], v[58:59]
	v_fma_f64 v[46:47], v[46:47], s[0:1], v[56:57]
	v_fma_f64 v[4:5], v[64:65], 2.0, -v[48:49]
	v_fma_f64 v[12:13], v[66:67], 2.0, -v[50:51]
	v_add_f64_e64 v[0:1], v[80:81], -v[0:1]
	v_add_f64_e64 v[18:19], v[82:83], -v[2:3]
	v_fma_f64 v[42:43], v[42:43], s[0:1], v[60:61]
	v_fma_f64 v[40:41], v[40:41], s[6:7], v[62:63]
	v_fma_f64 v[2:3], v[20:21], 2.0, -v[88:89]
	v_fma_f64 v[8:9], v[22:23], 2.0, -v[90:91]
	;; [unrolled: 1-line block ×4, first 2 shown]
	v_add_f64_e64 v[20:21], v[84:85], -v[6:7]
	v_add_f64_e64 v[22:23], v[86:87], -v[10:11]
	v_fma_f64 v[24:25], v[24:25], 2.0, -v[30:31]
	v_fma_f64 v[26:27], v[26:27], 2.0, -v[28:29]
	v_fma_f64 v[56:57], v[30:31], s[6:7], v[88:89]
	v_fma_f64 v[58:59], v[28:29], s[6:7], v[90:91]
	;; [unrolled: 1-line block ×4, first 2 shown]
	v_fma_f64 v[16:17], v[38:39], 2.0, -v[44:45]
	v_fma_f64 v[6:7], v[36:37], 2.0, -v[46:47]
	;; [unrolled: 1-line block ×6, first 2 shown]
	v_fma_f64 v[36:37], v[42:43], s[16:17], v[46:47]
	v_fma_f64 v[38:39], v[40:41], s[16:17], v[44:45]
	;; [unrolled: 1-line block ×4, first 2 shown]
	v_fma_f64 v[80:81], v[84:85], 2.0, -v[20:21]
	v_fma_f64 v[82:83], v[86:87], 2.0, -v[22:23]
	v_fma_f64 v[84:85], v[24:25], s[0:1], v[2:3]
	v_fma_f64 v[86:87], v[26:27], s[0:1], v[8:9]
	;; [unrolled: 1-line block ×6, first 2 shown]
	v_add_f64_e64 v[64:65], v[0:1], -v[22:23]
	v_add_f64_e32 v[66:67], v[18:19], v[20:21]
	v_fma_f64 v[28:29], v[32:33], s[10:11], v[6:7]
	v_fma_f64 v[30:31], v[34:35], s[10:11], v[16:17]
	;; [unrolled: 1-line block ×6, first 2 shown]
	v_add_f64_e64 v[80:81], v[10:11], -v[80:81]
	v_add_f64_e64 v[82:83], v[14:15], -v[82:83]
	v_fma_f64 v[56:57], v[26:27], s[0:1], v[84:85]
	v_fma_f64 v[58:59], v[24:25], s[6:7], v[86:87]
	v_fma_f64 v[76:77], v[88:89], 2.0, -v[72:73]
	v_fma_f64 v[78:79], v[90:91], 2.0, -v[74:75]
	v_fma_f64 v[88:89], v[48:49], 2.0, -v[68:69]
	v_fma_f64 v[90:91], v[50:51], 2.0, -v[70:71]
	v_fma_f64 v[92:93], v[34:35], s[14:15], v[28:29]
	v_fma_f64 v[94:95], v[32:33], s[16:17], v[30:31]
	v_fma_f64 v[84:85], v[46:47], 2.0, -v[60:61]
	v_fma_f64 v[86:87], v[44:45], 2.0, -v[62:63]
	s_and_saveexec_b32 s0, vcc_lo
	s_cbranch_execz .LBB0_7
; %bb.6:
	v_fma_f64 v[26:27], v[14:15], 2.0, -v[82:83]
	v_fma_f64 v[24:25], v[10:11], 2.0, -v[80:81]
	;; [unrolled: 1-line block ×10, first 2 shown]
	v_and_b32_e32 v0, 0xffff, v135
	s_delay_alu instid0(VALU_DEP_1)
	v_lshlrev_b32_e32 v0, 4, v0
	ds_store_b128 v0, v[76:79] offset:96
	ds_store_b128 v0, v[88:91] offset:112
	;; [unrolled: 1-line block ×8, first 2 shown]
	ds_store_b128 v0, v[24:27]
	ds_store_b128 v0, v[20:23] offset:16
	ds_store_b128 v0, v[6:9] offset:32
	;; [unrolled: 1-line block ×7, first 2 shown]
.LBB0_7:
	s_wait_alu 0xfffe
	s_or_b32 exec_lo, exec_lo, s0
	v_and_b32_e32 v118, 15, v134
	s_load_b128 s[4:7], s[4:5], 0x0
	global_wb scope:SCOPE_SE
	s_wait_dscnt 0x0
	s_wait_kmcnt 0x0
	s_barrier_signal -1
	s_barrier_wait -1
	v_lshlrev_b32_e32 v0, 6, v118
	global_inv scope:SCOPE_SE
	s_mov_b32 s14, 0x134454ff
	s_mov_b32 s15, 0x3fee6f0e
	;; [unrolled: 1-line block ×3, first 2 shown]
	s_clause 0x3
	global_load_b128 v[12:15], v0, s[2:3]
	global_load_b128 v[8:11], v0, s[2:3] offset:16
	global_load_b128 v[4:7], v0, s[2:3] offset:32
	;; [unrolled: 1-line block ×3, first 2 shown]
	ds_load_b128 v[16:19], v133 offset:2560
	ds_load_b128 v[20:23], v133 offset:5120
	;; [unrolled: 1-line block ×4, first 2 shown]
	s_wait_alu 0xfffe
	s_mov_b32 s10, s14
	s_mov_b32 s18, 0x4755a5e
	;; [unrolled: 1-line block ×4, first 2 shown]
	s_wait_alu 0xfffe
	s_mov_b32 s16, s18
	s_mov_b32 s20, 0x372fe950
	;; [unrolled: 1-line block ×3, first 2 shown]
	v_cmp_gt_u16_e64 s0, 0x50, v134
	s_wait_loadcnt_dscnt 0x303
	v_mul_f64_e32 v[32:33], v[18:19], v[14:15]
	s_wait_loadcnt_dscnt 0x202
	v_mul_f64_e32 v[34:35], v[22:23], v[10:11]
	s_wait_loadcnt_dscnt 0x101
	v_mul_f64_e32 v[36:37], v[26:27], v[6:7]
	v_mul_f64_e32 v[38:39], v[16:17], v[14:15]
	s_wait_loadcnt_dscnt 0x0
	v_mul_f64_e32 v[40:41], v[30:31], v[2:3]
	v_mul_f64_e32 v[42:43], v[20:21], v[10:11]
	;; [unrolled: 1-line block ×4, first 2 shown]
	v_fma_f64 v[32:33], v[16:17], v[12:13], -v[32:33]
	v_fma_f64 v[20:21], v[20:21], v[8:9], -v[34:35]
	;; [unrolled: 1-line block ×3, first 2 shown]
	v_fma_f64 v[34:35], v[18:19], v[12:13], v[38:39]
	v_fma_f64 v[28:29], v[28:29], v[0:1], -v[40:41]
	v_fma_f64 v[22:23], v[22:23], v[8:9], v[42:43]
	v_fma_f64 v[26:27], v[26:27], v[4:5], v[44:45]
	;; [unrolled: 1-line block ×3, first 2 shown]
	ds_load_b128 v[16:19], v133
	global_wb scope:SCOPE_SE
	s_wait_dscnt 0x0
	s_barrier_signal -1
	s_barrier_wait -1
	global_inv scope:SCOPE_SE
	v_add_f64_e32 v[44:45], v[16:17], v[32:33]
	v_add_f64_e32 v[36:37], v[20:21], v[24:25]
	;; [unrolled: 1-line block ×4, first 2 shown]
	v_add_f64_e64 v[96:97], v[32:33], -v[28:29]
	v_add_f64_e32 v[40:41], v[22:23], v[26:27]
	v_add_f64_e32 v[42:43], v[34:35], v[30:31]
	v_add_f64_e64 v[46:47], v[34:35], -v[30:31]
	v_add_f64_e64 v[48:49], v[22:23], -v[26:27]
	;; [unrolled: 1-line block ×8, first 2 shown]
	v_fma_f64 v[36:37], v[36:37], -0.5, v[16:17]
	v_add_f64_e32 v[22:23], v[50:51], v[22:23]
	v_fma_f64 v[16:17], v[38:39], -0.5, v[16:17]
	v_add_f64_e64 v[38:39], v[20:21], -v[24:25]
	v_fma_f64 v[40:41], v[40:41], -0.5, v[18:19]
	v_fma_f64 v[18:19], v[42:43], -0.5, v[18:19]
	v_add_f64_e64 v[42:43], v[32:33], -v[20:21]
	v_add_f64_e64 v[32:33], v[20:21], -v[32:33]
	v_add_f64_e32 v[20:21], v[44:45], v[20:21]
	v_add_f64_e32 v[116:117], v[102:103], v[104:105]
	;; [unrolled: 1-line block ×3, first 2 shown]
	v_fma_f64 v[44:45], v[46:47], s[14:15], v[36:37]
	v_fma_f64 v[36:37], v[46:47], s[10:11], v[36:37]
	;; [unrolled: 1-line block ×8, first 2 shown]
	v_add_f64_e32 v[42:43], v[42:43], v[98:99]
	v_add_f64_e32 v[32:33], v[32:33], v[100:101]
	;; [unrolled: 1-line block ×4, first 2 shown]
	v_fma_f64 v[24:25], v[48:49], s[18:19], v[44:45]
	s_wait_alu 0xfffe
	v_fma_f64 v[26:27], v[48:49], s[16:17], v[36:37]
	v_fma_f64 v[36:37], v[46:47], s[18:19], v[50:51]
	;; [unrolled: 1-line block ×7, first 2 shown]
	v_add_f64_e32 v[96:97], v[20:21], v[28:29]
	v_add_f64_e32 v[98:99], v[22:23], v[30:31]
	v_fma_f64 v[108:109], v[42:43], s[20:21], v[24:25]
	v_fma_f64 v[104:105], v[42:43], s[20:21], v[26:27]
	;; [unrolled: 1-line block ×8, first 2 shown]
	v_lshrrev_b32_e32 v16, 4, v134
	s_delay_alu instid0(VALU_DEP_1) | instskip(NEXT) | instid1(VALU_DEP_1)
	v_mul_u32_u24_e32 v16, 0x50, v16
	v_or_b32_e32 v16, v16, v118
	s_delay_alu instid0(VALU_DEP_1)
	v_lshlrev_b32_e32 v136, 4, v16
	ds_store_b128 v136, v[96:99]
	ds_store_b128 v136, v[108:111] offset:256
	ds_store_b128 v136, v[100:103] offset:512
	ds_store_b128 v136, v[112:115] offset:768
	ds_store_b128 v136, v[104:107] offset:1024
	global_wb scope:SCOPE_SE
	s_wait_dscnt 0x0
	s_barrier_signal -1
	s_barrier_wait -1
	global_inv scope:SCOPE_SE
	s_and_saveexec_b32 s1, s0
	s_cbranch_execz .LBB0_9
; %bb.8:
	ds_load_b128 v[96:99], v133
	ds_load_b128 v[108:111], v133 offset:1280
	ds_load_b128 v[100:103], v133 offset:2560
	;; [unrolled: 1-line block ×9, first 2 shown]
.LBB0_9:
	s_wait_alu 0xfffe
	s_or_b32 exec_lo, exec_lo, s1
	v_add_nc_u32_e32 v16, 0xffffffb0, v134
	s_delay_alu instid0(VALU_DEP_1) | instskip(NEXT) | instid1(VALU_DEP_1)
	v_cndmask_b32_e64 v16, v16, v134, s0
	v_mul_i32_i24_e32 v17, 0x90, v16
	v_mul_hi_i32_i24_e32 v16, 0x90, v16
	s_delay_alu instid0(VALU_DEP_2) | instskip(SKIP_1) | instid1(VALU_DEP_2)
	v_add_co_u32 v44, s1, s2, v17
	s_wait_alu 0xf1ff
	v_add_co_ci_u32_e64 v45, s1, s3, v16, s1
	s_mov_b32 s2, 0x9b97f4a8
	s_mov_b32 s3, 0x3fe9e377
	s_clause 0x8
	global_load_b128 v[28:31], v[44:45], off offset:1088
	global_load_b128 v[40:43], v[44:45], off offset:1056
	;; [unrolled: 1-line block ×9, first 2 shown]
	s_wait_loadcnt_dscnt 0x804
	v_mul_f64_e32 v[116:117], v[86:87], v[30:31]
	s_wait_loadcnt 0x7
	v_mul_f64_e32 v[118:119], v[114:115], v[42:43]
	v_mul_f64_e32 v[121:122], v[84:85], v[30:31]
	s_wait_loadcnt_dscnt 0x602
	v_mul_f64_e32 v[123:124], v[88:89], v[38:39]
	v_mul_f64_e32 v[125:126], v[112:113], v[42:43]
	s_wait_loadcnt_dscnt 0x500
	v_mul_f64_e32 v[127:128], v[92:93], v[50:51]
	v_mul_f64_e32 v[129:130], v[94:95], v[50:51]
	;; [unrolled: 1-line block ×3, first 2 shown]
	s_wait_loadcnt 0x4
	v_mul_f64_e32 v[137:138], v[110:111], v[18:19]
	v_mul_f64_e32 v[139:140], v[108:109], v[18:19]
	v_fma_f64 v[84:85], v[84:85], v[28:29], -v[116:117]
	v_fma_f64 v[112:113], v[112:113], v[40:41], -v[118:119]
	v_fma_f64 v[86:87], v[86:87], v[28:29], v[121:122]
	v_fma_f64 v[90:91], v[90:91], v[36:37], v[123:124]
	;; [unrolled: 1-line block ×4, first 2 shown]
	v_fma_f64 v[92:93], v[92:93], v[48:49], -v[129:130]
	v_fma_f64 v[88:89], v[88:89], v[36:37], -v[131:132]
	s_wait_loadcnt 0x3
	v_mul_f64_e32 v[116:117], v[102:103], v[34:35]
	v_mul_f64_e32 v[118:119], v[100:101], v[34:35]
	s_wait_loadcnt 0x2
	v_mul_f64_e32 v[121:122], v[106:107], v[22:23]
	v_mul_f64_e32 v[123:124], v[104:105], v[22:23]
	s_wait_loadcnt 0x1
	v_mul_f64_e32 v[125:126], v[78:79], v[26:27]
	s_wait_loadcnt 0x0
	v_mul_f64_e32 v[127:128], v[82:83], v[46:47]
	v_mul_f64_e32 v[129:130], v[76:77], v[26:27]
	;; [unrolled: 1-line block ×3, first 2 shown]
	v_fma_f64 v[108:109], v[108:109], v[16:17], -v[137:138]
	v_fma_f64 v[110:111], v[110:111], v[16:17], v[139:140]
	v_add_f64_e64 v[145:146], v[112:113], -v[84:85]
	v_add_f64_e64 v[149:150], v[84:85], -v[112:113]
	v_add_f64_e32 v[137:138], v[86:87], v[90:91]
	v_add_f64_e64 v[153:154], v[114:115], -v[86:87]
	v_add_f64_e32 v[139:140], v[114:115], v[94:95]
	v_add_f64_e32 v[141:142], v[112:113], v[92:93]
	;; [unrolled: 1-line block ×3, first 2 shown]
	v_fma_f64 v[100:101], v[100:101], v[32:33], -v[116:117]
	v_fma_f64 v[102:103], v[102:103], v[32:33], v[118:119]
	v_fma_f64 v[104:105], v[104:105], v[20:21], -v[121:122]
	v_fma_f64 v[106:107], v[106:107], v[20:21], v[123:124]
	v_fma_f64 v[76:77], v[76:77], v[24:25], -v[125:126]
	v_fma_f64 v[80:81], v[80:81], v[44:45], -v[127:128]
	v_fma_f64 v[78:79], v[78:79], v[24:25], v[129:130]
	v_fma_f64 v[82:83], v[82:83], v[44:45], v[131:132]
	v_add_f64_e64 v[116:117], v[114:115], -v[94:95]
	v_add_f64_e64 v[118:119], v[86:87], -v[90:91]
	;; [unrolled: 1-line block ×9, first 2 shown]
	v_fma_f64 v[125:126], v[137:138], -0.5, v[110:111]
	v_fma_f64 v[127:128], v[139:140], -0.5, v[110:111]
	;; [unrolled: 1-line block ×4, first 2 shown]
	v_add_f64_e32 v[169:170], v[96:97], v[100:101]
	v_add_f64_e32 v[108:109], v[108:109], v[112:113]
	;; [unrolled: 1-line block ×8, first 2 shown]
	v_add_f64_e64 v[114:115], v[102:103], -v[82:83]
	v_add_f64_e64 v[171:172], v[106:107], -v[78:79]
	;; [unrolled: 1-line block ×4, first 2 shown]
	v_fma_f64 v[161:162], v[121:122], s[10:11], v[125:126]
	v_fma_f64 v[125:126], v[121:122], s[14:15], v[125:126]
	;; [unrolled: 1-line block ×8, first 2 shown]
	v_add_f64_e32 v[84:85], v[108:109], v[84:85]
	v_fma_f64 v[137:138], v[137:138], -0.5, v[96:97]
	v_fma_f64 v[96:97], v[139:140], -0.5, v[96:97]
	;; [unrolled: 1-line block ×4, first 2 shown]
	v_add_f64_e32 v[141:142], v[145:146], v[147:148]
	v_add_f64_e32 v[143:144], v[149:150], v[151:152]
	;; [unrolled: 1-line block ×4, first 2 shown]
	v_add_f64_e64 v[157:158], v[82:83], -v[78:79]
	v_add_f64_e64 v[159:160], v[78:79], -v[82:83]
	v_add_f64_e32 v[86:87], v[110:111], v[86:87]
	v_fma_f64 v[149:150], v[123:124], s[16:17], v[161:162]
	v_fma_f64 v[123:124], v[123:124], s[18:19], v[125:126]
	;; [unrolled: 1-line block ×8, first 2 shown]
	v_add_f64_e64 v[125:126], v[100:101], -v[104:105]
	v_add_f64_e64 v[127:128], v[80:81], -v[76:77]
	;; [unrolled: 1-line block ×6, first 2 shown]
	v_add_f64_e32 v[104:105], v[169:170], v[104:105]
	v_add_f64_e32 v[106:107], v[112:113], v[106:107]
	v_fma_f64 v[108:109], v[114:115], s[14:15], v[137:138]
	v_fma_f64 v[110:111], v[114:115], s[10:11], v[137:138]
	;; [unrolled: 1-line block ×8, first 2 shown]
	v_add_f64_e32 v[84:85], v[84:85], v[88:89]
	v_add_f64_e32 v[86:87], v[86:87], v[90:91]
	v_fma_f64 v[149:150], v[145:146], s[20:21], v[149:150]
	v_fma_f64 v[123:124], v[145:146], s[20:21], v[123:124]
	;; [unrolled: 1-line block ×8, first 2 shown]
	v_add_f64_e32 v[125:126], v[125:126], v[127:128]
	v_add_f64_e32 v[127:128], v[129:130], v[157:158]
	;; [unrolled: 1-line block ×6, first 2 shown]
	v_fma_f64 v[88:89], v[171:172], s[18:19], v[108:109]
	v_fma_f64 v[90:91], v[171:172], s[16:17], v[110:111]
	;; [unrolled: 1-line block ×8, first 2 shown]
	v_add_f64_e32 v[84:85], v[84:85], v[92:93]
	v_add_f64_e32 v[86:87], v[86:87], v[94:95]
	v_mul_f64_e32 v[112:113], s[18:19], v[149:150]
	s_wait_alu 0xfffe
	v_mul_f64_e32 v[143:144], s[2:3], v[123:124]
	v_mul_f64_e32 v[114:115], s[14:15], v[151:152]
	;; [unrolled: 1-line block ×7, first 2 shown]
	v_add_f64_e32 v[80:81], v[76:77], v[80:81]
	v_add_f64_e32 v[82:83], v[78:79], v[82:83]
	v_fma_f64 v[145:146], v[125:126], s[20:21], v[88:89]
	v_fma_f64 v[125:126], v[125:126], s[20:21], v[90:91]
	;; [unrolled: 1-line block ×10, first 2 shown]
	v_fma_f64 v[108:109], v[121:122], s[14:15], -v[129:130]
	v_fma_f64 v[114:115], v[123:124], s[18:19], -v[131:132]
	v_fma_f64 v[116:117], v[149:150], s[2:3], v[137:138]
	v_fma_f64 v[118:119], v[151:152], s[20:21], v[139:140]
	v_fma_f64 v[121:122], v[153:154], s[10:11], -v[141:142]
	v_fma_f64 v[123:124], v[155:156], s[16:17], -v[143:144]
	v_add_f64_e32 v[76:77], v[80:81], v[84:85]
	v_add_f64_e32 v[78:79], v[82:83], v[86:87]
	v_add_f64_e64 v[92:93], v[80:81], -v[84:85]
	v_add_f64_e64 v[94:95], v[82:83], -v[86:87]
	v_add_f64_e32 v[80:81], v[145:146], v[100:101]
	v_add_f64_e64 v[100:101], v[145:146], -v[100:101]
	v_add_f64_e32 v[84:85], v[104:105], v[102:103]
	v_add_f64_e32 v[88:89], v[147:148], v[108:109]
	;; [unrolled: 1-line block ×7, first 2 shown]
	v_add_f64_e64 v[104:105], v[104:105], -v[102:103]
	v_add_f64_e64 v[112:113], v[147:148], -v[108:109]
	;; [unrolled: 1-line block ×7, first 2 shown]
	s_and_saveexec_b32 s1, s0
	s_cbranch_execz .LBB0_11
; %bb.10:
	ds_store_b128 v133, v[76:79]
	ds_store_b128 v133, v[80:83] offset:1280
	ds_store_b128 v133, v[84:87] offset:2560
	;; [unrolled: 1-line block ×9, first 2 shown]
.LBB0_11:
	s_wait_alu 0xfffe
	s_or_b32 exec_lo, exec_lo, s1
	global_wb scope:SCOPE_SE
	s_wait_dscnt 0x0
	s_barrier_signal -1
	s_barrier_wait -1
	global_inv scope:SCOPE_SE
	s_and_saveexec_b32 s1, vcc_lo
	s_cbranch_execz .LBB0_13
; %bb.12:
	global_load_b128 v[116:119], v133, s[8:9] offset:12800
	s_add_nc_u64 s[2:3], s[8:9], 0x3200
	global_load_b128 v[121:124], v133, s[2:3] offset:800
	ds_load_b128 v[125:128], v133
	ds_load_b128 v[129:132], v133 offset:800
	s_wait_loadcnt_dscnt 0x101
	v_mul_f64_e32 v[137:138], v[127:128], v[118:119]
	v_mul_f64_e32 v[118:119], v[125:126], v[118:119]
	s_delay_alu instid0(VALU_DEP_2) | instskip(NEXT) | instid1(VALU_DEP_2)
	v_fma_f64 v[125:126], v[125:126], v[116:117], -v[137:138]
	v_fma_f64 v[127:128], v[127:128], v[116:117], v[118:119]
	s_wait_loadcnt_dscnt 0x0
	v_mul_f64_e32 v[116:117], v[131:132], v[123:124]
	v_mul_f64_e32 v[118:119], v[129:130], v[123:124]
	s_delay_alu instid0(VALU_DEP_2) | instskip(NEXT) | instid1(VALU_DEP_2)
	v_fma_f64 v[116:117], v[129:130], v[121:122], -v[116:117]
	v_fma_f64 v[118:119], v[131:132], v[121:122], v[118:119]
	s_clause 0x1
	global_load_b128 v[121:124], v133, s[2:3] offset:1600
	global_load_b128 v[129:132], v133, s[2:3] offset:2400
	ds_load_b128 v[137:140], v133 offset:1600
	ds_load_b128 v[141:144], v133 offset:2400
	s_wait_loadcnt_dscnt 0x101
	v_mul_f64_e32 v[145:146], v[139:140], v[123:124]
	v_mul_f64_e32 v[123:124], v[137:138], v[123:124]
	s_delay_alu instid0(VALU_DEP_2) | instskip(NEXT) | instid1(VALU_DEP_2)
	v_fma_f64 v[137:138], v[137:138], v[121:122], -v[145:146]
	v_fma_f64 v[139:140], v[139:140], v[121:122], v[123:124]
	s_wait_loadcnt_dscnt 0x0
	v_mul_f64_e32 v[121:122], v[143:144], v[131:132]
	v_mul_f64_e32 v[123:124], v[141:142], v[131:132]
	s_delay_alu instid0(VALU_DEP_2) | instskip(NEXT) | instid1(VALU_DEP_2)
	v_fma_f64 v[121:122], v[141:142], v[129:130], -v[121:122]
	v_fma_f64 v[123:124], v[143:144], v[129:130], v[123:124]
	s_clause 0x1
	global_load_b128 v[129:132], v133, s[2:3] offset:3200
	global_load_b128 v[141:144], v133, s[2:3] offset:4000
	ds_load_b128 v[145:148], v133 offset:3200
	;; [unrolled: 17-line block ×7, first 2 shown]
	ds_load_b128 v[189:192], v133 offset:12000
	s_wait_loadcnt_dscnt 0x101
	v_mul_f64_e32 v[193:194], v[187:188], v[175:176]
	v_mul_f64_e32 v[175:176], v[185:186], v[175:176]
	s_delay_alu instid0(VALU_DEP_2) | instskip(NEXT) | instid1(VALU_DEP_2)
	v_fma_f64 v[185:186], v[185:186], v[173:174], -v[193:194]
	v_fma_f64 v[187:188], v[187:188], v[173:174], v[175:176]
	s_wait_loadcnt_dscnt 0x0
	v_mul_f64_e32 v[173:174], v[191:192], v[183:184]
	v_mul_f64_e32 v[175:176], v[189:190], v[183:184]
	s_delay_alu instid0(VALU_DEP_2) | instskip(NEXT) | instid1(VALU_DEP_2)
	v_fma_f64 v[173:174], v[189:190], v[181:182], -v[173:174]
	v_fma_f64 v[175:176], v[191:192], v[181:182], v[175:176]
	ds_store_b128 v133, v[125:128]
	ds_store_b128 v133, v[116:119] offset:800
	ds_store_b128 v133, v[137:140] offset:1600
	;; [unrolled: 1-line block ×15, first 2 shown]
.LBB0_13:
	s_wait_alu 0xfffe
	s_or_b32 exec_lo, exec_lo, s1
	global_wb scope:SCOPE_SE
	s_wait_dscnt 0x0
	s_barrier_signal -1
	s_barrier_wait -1
	global_inv scope:SCOPE_SE
	s_and_saveexec_b32 s1, vcc_lo
	s_cbranch_execz .LBB0_15
; %bb.14:
	ds_load_b128 v[76:79], v133
	ds_load_b128 v[80:83], v133 offset:800
	ds_load_b128 v[84:87], v133 offset:1600
	;; [unrolled: 1-line block ×15, first 2 shown]
.LBB0_15:
	s_wait_alu 0xfffe
	s_or_b32 exec_lo, exec_lo, s1
	s_wait_dscnt 0x7
	v_add_f64_e64 v[116:117], v[76:77], -v[112:113]
	v_add_f64_e64 v[118:119], v[78:79], -v[114:115]
	s_wait_dscnt 0x3
	v_add_f64_e64 v[64:65], v[96:97], -v[64:65]
	v_add_f64_e64 v[66:67], v[98:99], -v[66:67]
	;; [unrolled: 1-line block ×4, first 2 shown]
	s_wait_dscnt 0x1
	v_add_f64_e64 v[72:73], v[100:101], -v[72:73]
	v_add_f64_e64 v[74:75], v[102:103], -v[74:75]
	;; [unrolled: 1-line block ×8, first 2 shown]
	s_wait_dscnt 0x0
	v_add_f64_e64 v[70:71], v[106:107], -v[70:71]
	v_add_f64_e64 v[68:69], v[104:105], -v[68:69]
	s_mov_b32 s2, 0x667f3bcd
	s_mov_b32 s3, 0xbfe6a09e
	;; [unrolled: 1-line block ×3, first 2 shown]
	s_wait_alu 0xfffe
	s_mov_b32 s10, s2
	s_mov_b32 s14, 0xcf328d46
	;; [unrolled: 1-line block ×6, first 2 shown]
	s_wait_alu 0xfffe
	s_mov_b32 s16, s14
	s_mov_b32 s19, 0xbfd87de2
	;; [unrolled: 1-line block ×3, first 2 shown]
	global_wb scope:SCOPE_SE
	s_barrier_signal -1
	s_barrier_wait -1
	global_inv scope:SCOPE_SE
	v_fma_f64 v[76:77], v[76:77], 2.0, -v[116:117]
	v_fma_f64 v[78:79], v[78:79], 2.0, -v[118:119]
	v_add_f64_e64 v[110:111], v[118:119], -v[64:65]
	v_add_f64_e32 v[108:109], v[116:117], v[66:67]
	v_fma_f64 v[64:65], v[96:97], 2.0, -v[64:65]
	v_fma_f64 v[66:67], v[98:99], 2.0, -v[66:67]
	v_add_f64_e64 v[127:128], v[58:59], -v[72:73]
	v_add_f64_e32 v[125:126], v[74:75], v[56:57]
	;; [unrolled: 4-line block ×3, first 2 shown]
	v_fma_f64 v[72:73], v[100:101], 2.0, -v[72:73]
	v_fma_f64 v[74:75], v[102:103], 2.0, -v[74:75]
	v_add_f64_e32 v[131:132], v[70:71], v[52:53]
	v_add_f64_e64 v[129:130], v[54:55], -v[68:69]
	v_fma_f64 v[80:81], v[80:81], 2.0, -v[121:122]
	v_fma_f64 v[82:83], v[82:83], 2.0, -v[123:124]
	v_fma_f64 v[60:61], v[92:93], 2.0, -v[60:61]
	v_fma_f64 v[62:63], v[94:95], 2.0, -v[62:63]
	v_fma_f64 v[92:93], v[88:89], 2.0, -v[52:53]
	v_fma_f64 v[94:95], v[90:91], 2.0, -v[54:55]
	v_fma_f64 v[68:69], v[104:105], 2.0, -v[68:69]
	v_fma_f64 v[70:71], v[106:107], 2.0, -v[70:71]
	v_fma_f64 v[106:107], v[116:117], 2.0, -v[108:109]
	v_fma_f64 v[116:117], v[118:119], 2.0, -v[110:111]
	v_add_f64_e64 v[84:85], v[76:77], -v[64:65]
	v_fma_f64 v[58:59], v[58:59], 2.0, -v[127:128]
	v_fma_f64 v[56:57], v[56:57], 2.0, -v[125:126]
	v_add_f64_e64 v[86:87], v[78:79], -v[66:67]
	v_fma_f64 v[141:142], v[127:128], s[10:11], v[110:111]
	v_fma_f64 v[139:140], v[123:124], 2.0, -v[114:115]
	v_fma_f64 v[137:138], v[121:122], 2.0, -v[112:113]
	v_add_f64_e64 v[64:65], v[96:97], -v[72:73]
	v_add_f64_e64 v[66:67], v[98:99], -v[74:75]
	v_fma_f64 v[52:53], v[52:53], 2.0, -v[131:132]
	v_fma_f64 v[54:55], v[54:55], 2.0, -v[129:130]
	v_fma_f64 v[143:144], v[129:130], s[10:11], v[114:115]
	v_add_f64_e64 v[88:89], v[80:81], -v[60:61]
	v_add_f64_e64 v[90:91], v[82:83], -v[62:63]
	;; [unrolled: 1-line block ×4, first 2 shown]
	v_fma_f64 v[68:69], v[125:126], s[10:11], v[108:109]
	v_fma_f64 v[70:71], v[131:132], s[10:11], v[112:113]
	v_fma_f64 v[76:77], v[76:77], 2.0, -v[84:85]
	v_fma_f64 v[74:75], v[58:59], s[2:3], v[116:117]
	v_fma_f64 v[72:73], v[56:57], s[2:3], v[106:107]
	v_fma_f64 v[78:79], v[78:79], 2.0, -v[86:87]
	v_fma_f64 v[145:146], v[96:97], 2.0, -v[64:65]
	;; [unrolled: 1-line block ×3, first 2 shown]
	v_fma_f64 v[121:122], v[52:53], s[2:3], v[137:138]
	v_fma_f64 v[123:124], v[54:55], s[2:3], v[139:140]
	v_add_f64_e64 v[102:103], v[86:87], -v[64:65]
	v_fma_f64 v[131:132], v[131:132], s[2:3], v[143:144]
	v_fma_f64 v[80:81], v[80:81], 2.0, -v[88:89]
	v_fma_f64 v[82:83], v[82:83], 2.0, -v[90:91]
	;; [unrolled: 1-line block ×4, first 2 shown]
	v_add_f64_e32 v[94:95], v[84:85], v[66:67]
	v_fma_f64 v[96:97], v[127:128], s[10:11], v[68:69]
	v_add_f64_e32 v[100:101], v[62:63], v[88:89]
	v_add_f64_e64 v[104:105], v[90:91], -v[60:61]
	v_fma_f64 v[118:119], v[129:130], s[10:11], v[70:71]
	v_fma_f64 v[129:130], v[125:126], s[2:3], v[141:142]
	;; [unrolled: 1-line block ×4, first 2 shown]
	v_add_f64_e64 v[92:93], v[76:77], -v[145:146]
	v_add_f64_e64 v[98:99], v[78:79], -v[98:99]
	v_fma_f64 v[54:55], v[54:55], s[10:11], v[121:122]
	v_fma_f64 v[52:53], v[52:53], s[2:3], v[123:124]
	v_add_f64_e64 v[121:122], v[80:81], -v[147:148]
	v_add_f64_e64 v[123:124], v[82:83], -v[149:150]
	v_fma_f64 v[56:57], v[100:101], s[10:11], v[94:95]
	v_fma_f64 v[58:59], v[104:105], s[10:11], v[102:103]
	s_wait_alu 0xfffe
	v_fma_f64 v[64:65], v[118:119], s[16:17], v[96:97]
	v_fma_f64 v[127:128], v[116:117], 2.0, -v[62:63]
	v_fma_f64 v[106:107], v[106:107], 2.0, -v[60:61]
	;; [unrolled: 1-line block ×6, first 2 shown]
	v_fma_f64 v[70:71], v[54:55], s[20:21], v[60:61]
	v_fma_f64 v[74:75], v[52:53], s[20:21], v[62:63]
	;; [unrolled: 1-line block ×3, first 2 shown]
	v_fma_f64 v[139:140], v[80:81], 2.0, -v[121:122]
	v_fma_f64 v[141:142], v[82:83], 2.0, -v[123:124]
	v_fma_f64 v[76:77], v[104:105], s[10:11], v[56:57]
	v_fma_f64 v[78:79], v[100:101], s[2:3], v[58:59]
	;; [unrolled: 1-line block ×8, first 2 shown]
	v_add_f64_e64 v[56:57], v[116:117], -v[139:140]
	v_add_f64_e64 v[58:59], v[125:126], -v[141:142]
	v_fma_f64 v[52:53], v[94:95], 2.0, -v[76:77]
	v_fma_f64 v[54:55], v[102:103], 2.0, -v[78:79]
	v_fma_f64 v[64:65], v[96:97], 2.0, -v[72:73]
	v_fma_f64 v[68:69], v[68:69], s[20:21], v[143:144]
	v_fma_f64 v[70:71], v[66:67], s[18:19], v[145:146]
	v_fma_f64 v[60:61], v[60:61], 2.0, -v[80:81]
	v_fma_f64 v[62:63], v[62:63], 2.0, -v[82:83]
	;; [unrolled: 1-line block ×3, first 2 shown]
	s_and_saveexec_b32 s1, vcc_lo
	s_cbranch_execz .LBB0_17
; %bb.16:
	v_fma_f64 v[129:130], v[110:111], 2.0, -v[129:130]
	v_fma_f64 v[110:111], v[114:115], 2.0, -v[131:132]
	;; [unrolled: 1-line block ×8, first 2 shown]
	v_add_f64_e64 v[86:87], v[98:99], -v[121:122]
	v_add_f64_e32 v[84:85], v[92:93], v[123:124]
	v_fma_f64 v[108:109], v[116:117], 2.0, -v[56:57]
	v_fma_f64 v[90:91], v[110:111], s[18:19], v[129:130]
	v_fma_f64 v[94:95], v[102:103], s[2:3], v[118:119]
	;; [unrolled: 1-line block ×4, first 2 shown]
	s_delay_alu instid0(VALU_DEP_4) | instskip(NEXT) | instid1(VALU_DEP_4)
	v_fma_f64 v[90:91], v[112:113], s[14:15], v[90:91]
	v_fma_f64 v[96:97], v[88:89], s[2:3], v[94:95]
	s_delay_alu instid0(VALU_DEP_4) | instskip(NEXT) | instid1(VALU_DEP_4)
	v_fma_f64 v[94:95], v[102:103], s[10:11], v[100:101]
	v_fma_f64 v[88:89], v[110:111], s[16:17], v[104:105]
	v_fma_f64 v[110:111], v[125:126], 2.0, -v[58:59]
	v_fma_f64 v[102:103], v[127:128], 2.0, -v[70:71]
	;; [unrolled: 1-line block ×5, first 2 shown]
	v_and_b32_e32 v92, 0xffff, v135
	s_delay_alu instid0(VALU_DEP_1)
	v_lshlrev_b32_e32 v92, 4, v92
	v_fma_f64 v[114:115], v[129:130], 2.0, -v[90:91]
	v_fma_f64 v[118:119], v[118:119], 2.0, -v[96:97]
	;; [unrolled: 1-line block ×4, first 2 shown]
	ds_store_b128 v92, v[52:55] offset:96
	ds_store_b128 v92, v[64:67] offset:112
	;; [unrolled: 1-line block ×4, first 2 shown]
	ds_store_b128 v92, v[108:111]
	ds_store_b128 v92, v[100:103] offset:16
	ds_store_b128 v92, v[84:87] offset:192
	ds_store_b128 v92, v[80:83] offset:208
	ds_store_b128 v92, v[104:107] offset:64
	ds_store_b128 v92, v[60:63] offset:80
	ds_store_b128 v92, v[94:97] offset:160
	ds_store_b128 v92, v[88:91] offset:176
	ds_store_b128 v92, v[116:119] offset:32
	ds_store_b128 v92, v[112:115] offset:48
	ds_store_b128 v92, v[76:79] offset:224
	ds_store_b128 v92, v[72:75] offset:240
.LBB0_17:
	s_wait_alu 0xfffe
	s_or_b32 exec_lo, exec_lo, s1
	global_wb scope:SCOPE_SE
	s_wait_dscnt 0x0
	s_barrier_signal -1
	s_barrier_wait -1
	global_inv scope:SCOPE_SE
	ds_load_b128 v[72:75], v133 offset:2560
	ds_load_b128 v[76:79], v133 offset:5120
	;; [unrolled: 1-line block ×4, first 2 shown]
	s_mov_b32 s2, 0x134454ff
	s_mov_b32 s3, 0xbfee6f0e
	;; [unrolled: 1-line block ×3, first 2 shown]
	s_wait_alu 0xfffe
	s_mov_b32 s10, s2
	s_wait_dscnt 0x3
	v_mul_f64_e32 v[88:89], v[14:15], v[74:75]
	s_wait_dscnt 0x2
	v_mul_f64_e32 v[90:91], v[10:11], v[78:79]
	;; [unrolled: 2-line block ×3, first 2 shown]
	v_mul_f64_e32 v[14:15], v[14:15], v[72:73]
	s_wait_dscnt 0x0
	v_mul_f64_e32 v[94:95], v[2:3], v[86:87]
	v_mul_f64_e32 v[10:11], v[10:11], v[76:77]
	;; [unrolled: 1-line block ×4, first 2 shown]
	v_fma_f64 v[72:73], v[12:13], v[72:73], v[88:89]
	v_fma_f64 v[76:77], v[8:9], v[76:77], v[90:91]
	;; [unrolled: 1-line block ×3, first 2 shown]
	v_fma_f64 v[12:13], v[12:13], v[74:75], -v[14:15]
	v_fma_f64 v[14:15], v[0:1], v[84:85], v[94:95]
	v_fma_f64 v[8:9], v[8:9], v[78:79], -v[10:11]
	v_fma_f64 v[4:5], v[4:5], v[82:83], -v[6:7]
	;; [unrolled: 1-line block ×3, first 2 shown]
	ds_load_b128 v[0:3], v133
	global_wb scope:SCOPE_SE
	s_wait_dscnt 0x0
	s_barrier_signal -1
	s_barrier_wait -1
	global_inv scope:SCOPE_SE
	v_add_f64_e32 v[84:85], v[0:1], v[72:73]
	v_add_f64_e32 v[10:11], v[76:77], v[80:81]
	;; [unrolled: 1-line block ×4, first 2 shown]
	v_add_f64_e64 v[92:93], v[72:73], -v[14:15]
	v_add_f64_e32 v[78:79], v[8:9], v[4:5]
	v_add_f64_e32 v[82:83], v[12:13], v[6:7]
	v_add_f64_e64 v[86:87], v[12:13], -v[6:7]
	v_add_f64_e64 v[88:89], v[8:9], -v[4:5]
	v_add_f64_e64 v[94:95], v[14:15], -v[80:81]
	v_add_f64_e64 v[96:97], v[80:81], -v[14:15]
	v_add_f64_e64 v[98:99], v[12:13], -v[8:9]
	v_add_f64_e64 v[100:101], v[6:7], -v[4:5]
	v_add_f64_e64 v[12:13], v[8:9], -v[12:13]
	v_add_f64_e64 v[102:103], v[4:5], -v[6:7]
	v_fma_f64 v[10:11], v[10:11], -0.5, v[0:1]
	v_add_f64_e32 v[8:9], v[90:91], v[8:9]
	v_fma_f64 v[0:1], v[74:75], -0.5, v[0:1]
	v_add_f64_e64 v[74:75], v[76:77], -v[80:81]
	v_fma_f64 v[78:79], v[78:79], -0.5, v[2:3]
	v_fma_f64 v[2:3], v[82:83], -0.5, v[2:3]
	v_add_f64_e64 v[82:83], v[72:73], -v[76:77]
	v_add_f64_e64 v[72:73], v[76:77], -v[72:73]
	v_add_f64_e32 v[76:77], v[84:85], v[76:77]
	v_fma_f64 v[84:85], v[86:87], s[2:3], v[10:11]
	s_wait_alu 0xfffe
	v_fma_f64 v[10:11], v[86:87], s[10:11], v[10:11]
	v_fma_f64 v[90:91], v[88:89], s[10:11], v[0:1]
	;; [unrolled: 1-line block ×7, first 2 shown]
	s_mov_b32 s2, 0x4755a5e
	s_mov_b32 s3, 0xbfe2cf23
	;; [unrolled: 1-line block ×3, first 2 shown]
	s_wait_alu 0xfffe
	s_mov_b32 s10, s2
	v_add_f64_e32 v[82:83], v[82:83], v[94:95]
	v_add_f64_e32 v[72:73], v[72:73], v[96:97]
	;; [unrolled: 1-line block ×6, first 2 shown]
	v_fma_f64 v[8:9], v[88:89], s[2:3], v[84:85]
	s_wait_alu 0xfffe
	v_fma_f64 v[10:11], v[88:89], s[10:11], v[10:11]
	v_fma_f64 v[76:77], v[86:87], s[2:3], v[90:91]
	;; [unrolled: 1-line block ×7, first 2 shown]
	s_mov_b32 s2, 0x372fe950
	s_mov_b32 s3, 0x3fd3c6ef
	v_add_f64_e32 v[0:1], v[12:13], v[14:15]
	v_add_f64_e32 v[2:3], v[4:5], v[6:7]
	s_wait_alu 0xfffe
	v_fma_f64 v[4:5], v[82:83], s[2:3], v[8:9]
	v_fma_f64 v[12:13], v[82:83], s[2:3], v[10:11]
	;; [unrolled: 1-line block ×8, first 2 shown]
	ds_store_b128 v136, v[0:3]
	ds_store_b128 v136, v[4:7] offset:256
	ds_store_b128 v136, v[8:11] offset:512
	;; [unrolled: 1-line block ×4, first 2 shown]
	global_wb scope:SCOPE_SE
	s_wait_dscnt 0x0
	s_barrier_signal -1
	s_barrier_wait -1
	global_inv scope:SCOPE_SE
	s_and_saveexec_b32 s1, s0
	s_cbranch_execz .LBB0_19
; %bb.18:
	ds_load_b128 v[0:3], v133
	ds_load_b128 v[4:7], v133 offset:1280
	ds_load_b128 v[8:11], v133 offset:2560
	;; [unrolled: 1-line block ×9, first 2 shown]
.LBB0_19:
	s_wait_alu 0xfffe
	s_or_b32 exec_lo, exec_lo, s1
	s_and_saveexec_b32 s16, s0
	s_cbranch_execz .LBB0_21
; %bb.20:
	s_wait_dscnt 0x6
	v_mul_f64_e32 v[76:77], v[42:43], v[72:73]
	s_wait_dscnt 0x4
	v_mul_f64_e32 v[78:79], v[30:31], v[60:61]
	;; [unrolled: 2-line block ×4, first 2 shown]
	v_mul_f64_e32 v[42:43], v[42:43], v[74:75]
	v_mul_f64_e32 v[30:31], v[30:31], v[62:63]
	;; [unrolled: 1-line block ×6, first 2 shown]
	s_mov_b32 s2, 0x134454ff
	s_mov_b32 s3, 0xbfee6f0e
	s_mov_b32 s1, 0x3fee6f0e
	s_wait_alu 0xfffe
	s_mov_b32 s0, s2
	s_mov_b32 s14, 0x4755a5e
	;; [unrolled: 1-line block ×3, first 2 shown]
	s_wait_alu 0xfffe
	s_mov_b32 s10, s14
	s_mov_b32 s18, 0x372fe950
	;; [unrolled: 1-line block ×7, first 2 shown]
	s_wait_alu 0xfffe
	s_mov_b32 s22, s18
	s_mov_b32 s24, s20
	v_fma_f64 v[74:75], v[40:41], v[74:75], -v[76:77]
	v_fma_f64 v[62:63], v[28:29], v[62:63], -v[78:79]
	;; [unrolled: 1-line block ×4, first 2 shown]
	v_mul_f64_e32 v[76:77], v[34:35], v[8:9]
	v_mul_f64_e32 v[78:79], v[22:23], v[12:13]
	;; [unrolled: 1-line block ×7, first 2 shown]
	v_fma_f64 v[40:41], v[40:41], v[72:73], v[42:43]
	v_fma_f64 v[28:29], v[28:29], v[60:61], v[30:31]
	;; [unrolled: 1-line block ×4, first 2 shown]
	v_fma_f64 v[6:7], v[16:17], v[6:7], -v[84:85]
	v_mul_f64_e32 v[46:47], v[46:47], v[58:59]
	v_fma_f64 v[4:5], v[16:17], v[4:5], v[18:19]
	v_add_f64_e32 v[38:39], v[66:67], v[62:63]
	v_add_f64_e32 v[42:43], v[70:71], v[74:75]
	v_fma_f64 v[10:11], v[32:33], v[10:11], -v[76:77]
	v_fma_f64 v[14:15], v[20:21], v[14:15], -v[78:79]
	;; [unrolled: 1-line block ×4, first 2 shown]
	v_fma_f64 v[8:9], v[32:33], v[8:9], v[34:35]
	v_fma_f64 v[12:13], v[20:21], v[12:13], v[22:23]
	;; [unrolled: 1-line block ×3, first 2 shown]
	v_add_f64_e64 v[52:53], v[70:71], -v[66:67]
	v_add_f64_e64 v[58:59], v[66:67], -v[70:71]
	v_add_f64_e32 v[16:17], v[30:31], v[28:29]
	v_add_f64_e64 v[18:19], v[40:41], -v[36:37]
	v_add_f64_e32 v[22:23], v[36:37], v[40:41]
	v_add_f64_e64 v[24:25], v[28:29], -v[30:31]
	v_fma_f64 v[32:33], v[44:45], v[56:57], v[46:47]
	v_add_f64_e64 v[44:45], v[62:63], -v[66:67]
	v_add_f64_e64 v[46:47], v[74:75], -v[62:63]
	v_add_f64_e64 v[56:57], v[62:63], -v[74:75]
	v_add_f64_e64 v[80:81], v[40:41], -v[28:29]
	v_add_f64_e64 v[82:83], v[36:37], -v[30:31]
	v_add_f64_e64 v[84:85], v[28:29], -v[40:41]
	v_add_f64_e64 v[86:87], v[30:31], -v[36:37]
	v_fma_f64 v[26:27], v[38:39], -0.5, v[6:7]
	v_fma_f64 v[34:35], v[42:43], -0.5, v[6:7]
	v_add_f64_e64 v[42:43], v[74:75], -v[70:71]
	v_add_f64_e32 v[88:89], v[2:3], v[10:11]
	v_add_f64_e32 v[38:39], v[48:49], v[14:15]
	;; [unrolled: 1-line block ×6, first 2 shown]
	v_add_f64_e64 v[78:79], v[12:13], -v[20:21]
	v_add_f64_e64 v[74:75], v[10:11], -v[50:51]
	v_fma_f64 v[16:17], v[16:17], -0.5, v[4:5]
	v_add_f64_e64 v[90:91], v[14:15], -v[48:49]
	v_fma_f64 v[22:23], v[22:23], -0.5, v[4:5]
	v_add_f64_e32 v[4:5], v[40:41], v[4:5]
	v_add_f64_e32 v[64:65], v[32:33], v[8:9]
	v_add_f64_e64 v[76:77], v[8:9], -v[32:33]
	v_add_f64_e32 v[40:41], v[52:53], v[46:47]
	v_add_f64_e32 v[46:47], v[58:59], v[56:57]
	v_add_f64_e64 v[94:95], v[20:21], -v[32:33]
	v_add_f64_e32 v[80:81], v[82:83], v[80:81]
	v_add_f64_e32 v[82:83], v[86:87], v[84:85]
	v_fma_f64 v[68:69], v[18:19], s[2:3], v[26:27]
	v_fma_f64 v[72:73], v[24:25], s[0:1], v[34:35]
	v_fma_f64 v[34:35], v[24:25], s[2:3], v[34:35]
	v_fma_f64 v[26:27], v[18:19], s[0:1], v[26:27]
	v_fma_f64 v[38:39], v[38:39], -0.5, v[2:3]
	v_fma_f64 v[2:3], v[54:55], -0.5, v[2:3]
	v_add_f64_e32 v[6:7], v[62:63], v[6:7]
	v_fma_f64 v[52:53], v[60:61], -0.5, v[0:1]
	v_fma_f64 v[54:55], v[42:43], s[0:1], v[16:17]
	v_fma_f64 v[16:17], v[42:43], s[2:3], v[16:17]
	;; [unrolled: 1-line block ×4, first 2 shown]
	v_fma_f64 v[0:1], v[64:65], -0.5, v[0:1]
	v_add_f64_e32 v[4:5], v[28:29], v[4:5]
	v_add_f64_e64 v[64:65], v[48:49], -v[50:51]
	v_fma_f64 v[58:59], v[24:25], s[14:15], v[68:69]
	v_fma_f64 v[60:61], v[18:19], s[14:15], v[72:73]
	;; [unrolled: 1-line block ×4, first 2 shown]
	v_add_f64_e64 v[26:27], v[10:11], -v[14:15]
	v_add_f64_e64 v[10:11], v[14:15], -v[10:11]
	;; [unrolled: 1-line block ×4, first 2 shown]
	v_add_f64_e32 v[14:15], v[14:15], v[88:89]
	v_add_f64_e32 v[12:13], v[12:13], v[92:93]
	v_add_f64_e64 v[34:35], v[50:51], -v[48:49]
	v_add_f64_e64 v[72:73], v[32:33], -v[20:21]
	v_fma_f64 v[28:29], v[76:77], s[2:3], v[38:39]
	v_fma_f64 v[62:63], v[78:79], s[0:1], v[2:3]
	;; [unrolled: 1-line block ×11, first 2 shown]
	v_add_f64_e32 v[6:7], v[66:67], v[6:7]
	v_add_f64_e32 v[4:5], v[30:31], v[4:5]
	v_fma_f64 v[42:43], v[40:41], s[18:19], v[58:59]
	v_fma_f64 v[58:59], v[46:47], s[18:19], v[60:61]
	v_fma_f64 v[18:19], v[46:47], s[18:19], v[18:19]
	v_fma_f64 v[46:47], v[74:75], s[2:3], v[52:53]
	v_fma_f64 v[24:25], v[40:41], s[18:19], v[24:25]
	v_add_f64_e32 v[10:11], v[64:65], v[10:11]
	v_add_f64_e32 v[8:9], v[94:95], v[8:9]
	;; [unrolled: 1-line block ×6, first 2 shown]
	v_fma_f64 v[20:21], v[78:79], s[14:15], v[28:29]
	v_fma_f64 v[28:29], v[76:77], s[14:15], v[62:63]
	;; [unrolled: 1-line block ×11, first 2 shown]
	v_add_f64_e32 v[6:7], v[70:71], v[6:7]
	v_add_f64_e32 v[4:5], v[36:37], v[4:5]
	v_mul_f64_e32 v[52:53], s[20:21], v[42:43]
	v_mul_f64_e32 v[54:55], s[22:23], v[58:59]
	;; [unrolled: 1-line block ×3, first 2 shown]
	v_fma_f64 v[46:47], v[90:91], s[14:15], v[46:47]
	v_mul_f64_e32 v[60:61], s[24:25], v[24:25]
	v_mul_f64_e32 v[24:25], s[14:15], v[24:25]
	;; [unrolled: 1-line block ×5, first 2 shown]
	v_add_f64_e32 v[14:15], v[50:51], v[14:15]
	v_add_f64_e32 v[12:13], v[32:33], v[12:13]
	v_fma_f64 v[20:21], v[26:27], s[18:19], v[20:21]
	v_fma_f64 v[28:29], v[10:11], s[18:19], v[28:29]
	;; [unrolled: 1-line block ×16, first 2 shown]
	v_add_f64_e64 v[2:3], v[14:15], -v[6:7]
	v_add_f64_e64 v[0:1], v[12:13], -v[4:5]
	v_add_f64_e32 v[6:7], v[14:15], v[6:7]
	v_add_f64_e32 v[4:5], v[12:13], v[4:5]
	v_add_f64_e64 v[10:11], v[20:21], -v[26:27]
	v_add_f64_e64 v[14:15], v[28:29], -v[30:31]
	;; [unrolled: 1-line block ×3, first 2 shown]
	v_add_f64_e32 v[22:23], v[20:21], v[26:27]
	v_add_f64_e32 v[26:27], v[28:29], v[30:31]
	;; [unrolled: 1-line block ×8, first 2 shown]
	v_add_f64_e64 v[38:39], v[36:37], -v[52:53]
	v_add_f64_e64 v[36:37], v[46:47], -v[16:17]
	;; [unrolled: 1-line block ×5, first 2 shown]
	ds_store_b128 v133, v[4:7]
	ds_store_b128 v133, v[32:35] offset:1280
	ds_store_b128 v133, v[28:31] offset:2560
	;; [unrolled: 1-line block ×9, first 2 shown]
.LBB0_21:
	s_wait_alu 0xfffe
	s_or_b32 exec_lo, exec_lo, s16
	global_wb scope:SCOPE_SE
	s_wait_dscnt 0x0
	s_barrier_signal -1
	s_barrier_wait -1
	global_inv scope:SCOPE_SE
	s_and_b32 exec_lo, exec_lo, vcc_lo
	s_cbranch_execz .LBB0_23
; %bb.22:
	s_clause 0xb
	global_load_b128 v[0:3], v133, s[8:9]
	global_load_b128 v[4:7], v133, s[8:9] offset:800
	global_load_b128 v[8:11], v133, s[8:9] offset:1600
	;; [unrolled: 1-line block ×11, first 2 shown]
	v_mad_co_u64_u32 v[80:81], null, s6, v120, 0
	v_mad_co_u64_u32 v[96:97], null, s4, v134, 0
	s_mul_u64 s[0:1], s[4:5], 0x320
	s_mov_b32 s2, 0x47ae147b
	s_mov_b32 s3, 0x3f547ae1
	s_delay_alu instid0(VALU_DEP_2) | instskip(NEXT) | instid1(VALU_DEP_2)
	v_mov_b32_e32 v48, v81
	v_mov_b32_e32 v56, v97
	s_delay_alu instid0(VALU_DEP_2)
	v_mad_co_u64_u32 v[64:65], null, s7, v120, v[48:49]
	ds_load_b128 v[48:51], v133
	ds_load_b128 v[52:55], v133 offset:800
	v_mad_co_u64_u32 v[82:83], null, s5, v134, v[56:57]
	ds_load_b128 v[56:59], v133 offset:1600
	ds_load_b128 v[60:63], v133 offset:2400
	v_mov_b32_e32 v81, v64
	ds_load_b128 v[64:67], v133 offset:3200
	ds_load_b128 v[68:71], v133 offset:4000
	;; [unrolled: 1-line block ×4, first 2 shown]
	v_mov_b32_e32 v97, v82
	v_lshlrev_b64_e32 v[98:99], 4, v[80:81]
	ds_load_b128 v[80:83], v133 offset:6400
	ds_load_b128 v[84:87], v133 offset:7200
	;; [unrolled: 1-line block ×4, first 2 shown]
	v_lshlrev_b64_e32 v[96:97], 4, v[96:97]
	v_add_co_u32 v122, vcc_lo, s12, v98
	v_add_co_ci_u32_e32 v123, vcc_lo, s13, v99, vcc_lo
	s_delay_alu instid0(VALU_DEP_2) | instskip(SKIP_1) | instid1(VALU_DEP_2)
	v_add_co_u32 v96, vcc_lo, v122, v96
	s_wait_alu 0xfffd
	v_add_co_ci_u32_e32 v97, vcc_lo, v123, v97, vcc_lo
	s_wait_alu 0xfffe
	s_delay_alu instid0(VALU_DEP_2) | instskip(SKIP_1) | instid1(VALU_DEP_2)
	v_add_co_u32 v122, vcc_lo, v96, s0
	s_wait_alu 0xfffd
	v_add_co_ci_u32_e32 v123, vcc_lo, s1, v97, vcc_lo
	s_delay_alu instid0(VALU_DEP_2) | instskip(SKIP_1) | instid1(VALU_DEP_2)
	v_add_co_u32 v124, vcc_lo, v122, s0
	s_wait_alu 0xfffd
	v_add_co_ci_u32_e32 v125, vcc_lo, s1, v123, vcc_lo
	s_wait_loadcnt_dscnt 0xb0b
	v_mul_f64_e32 v[98:99], v[50:51], v[2:3]
	v_mul_f64_e32 v[2:3], v[48:49], v[2:3]
	s_wait_loadcnt_dscnt 0xa0a
	v_mul_f64_e32 v[100:101], v[54:55], v[6:7]
	v_mul_f64_e32 v[6:7], v[52:53], v[6:7]
	;; [unrolled: 3-line block ×12, first 2 shown]
	v_fma_f64 v[48:49], v[48:49], v[0:1], v[98:99]
	v_fma_f64 v[2:3], v[0:1], v[50:51], -v[2:3]
	v_fma_f64 v[50:51], v[52:53], v[4:5], v[100:101]
	v_fma_f64 v[6:7], v[4:5], v[54:55], -v[6:7]
	v_fma_f64 v[52:53], v[56:57], v[8:9], v[102:103]
	v_fma_f64 v[10:11], v[8:9], v[58:59], -v[10:11]
	v_fma_f64 v[54:55], v[60:61], v[12:13], v[104:105]
	v_fma_f64 v[14:15], v[12:13], v[62:63], -v[14:15]
	v_fma_f64 v[56:57], v[64:65], v[16:17], v[106:107]
	v_fma_f64 v[18:19], v[16:17], v[66:67], -v[18:19]
	v_fma_f64 v[58:59], v[68:69], v[20:21], v[108:109]
	v_fma_f64 v[22:23], v[20:21], v[70:71], -v[22:23]
	v_fma_f64 v[60:61], v[72:73], v[24:25], v[110:111]
	v_fma_f64 v[26:27], v[24:25], v[74:75], -v[26:27]
	v_fma_f64 v[62:63], v[76:77], v[28:29], v[112:113]
	v_fma_f64 v[30:31], v[28:29], v[78:79], -v[30:31]
	v_fma_f64 v[64:65], v[80:81], v[32:33], v[114:115]
	v_fma_f64 v[34:35], v[32:33], v[82:83], -v[34:35]
	v_fma_f64 v[66:67], v[84:85], v[36:37], v[116:117]
	v_fma_f64 v[38:39], v[36:37], v[86:87], -v[38:39]
	v_fma_f64 v[68:69], v[88:89], v[40:41], v[118:119]
	v_fma_f64 v[42:43], v[40:41], v[90:91], -v[42:43]
	v_fma_f64 v[70:71], v[92:93], v[44:45], v[120:121]
	v_fma_f64 v[46:47], v[44:45], v[94:95], -v[46:47]
	v_add_co_u32 v72, vcc_lo, v124, s0
	s_wait_alu 0xfffd
	v_add_co_ci_u32_e32 v73, vcc_lo, s1, v125, vcc_lo
	s_delay_alu instid0(VALU_DEP_2) | instskip(SKIP_1) | instid1(VALU_DEP_2)
	v_add_co_u32 v74, vcc_lo, v72, s0
	s_wait_alu 0xfffd
	v_add_co_ci_u32_e32 v75, vcc_lo, s1, v73, vcc_lo
	s_delay_alu instid0(VALU_DEP_2) | instskip(SKIP_1) | instid1(VALU_DEP_2)
	v_add_co_u32 v76, vcc_lo, v74, s0
	s_wait_alu 0xfffd
	v_add_co_ci_u32_e32 v77, vcc_lo, s1, v75, vcc_lo
	v_mul_f64_e32 v[0:1], s[2:3], v[48:49]
	v_mul_f64_e32 v[2:3], s[2:3], v[2:3]
	;; [unrolled: 1-line block ×24, first 2 shown]
	v_add_co_u32 v48, vcc_lo, v76, s0
	s_wait_alu 0xfffd
	v_add_co_ci_u32_e32 v49, vcc_lo, s1, v77, vcc_lo
	s_delay_alu instid0(VALU_DEP_2) | instskip(SKIP_1) | instid1(VALU_DEP_2)
	v_add_co_u32 v50, vcc_lo, v48, s0
	s_wait_alu 0xfffd
	v_add_co_ci_u32_e32 v51, vcc_lo, s1, v49, vcc_lo
	s_delay_alu instid0(VALU_DEP_2) | instskip(SKIP_1) | instid1(VALU_DEP_2)
	;; [unrolled: 4-line block ×5, first 2 shown]
	v_add_co_u32 v58, vcc_lo, v56, s0
	s_wait_alu 0xfffd
	v_add_co_ci_u32_e32 v59, vcc_lo, s1, v57, vcc_lo
	s_clause 0x4
	global_store_b128 v[96:97], v[0:3], off
	global_store_b128 v[122:123], v[4:7], off
	;; [unrolled: 1-line block ×12, first 2 shown]
	global_load_b128 v[0:3], v133, s[8:9] offset:9600
	ds_load_b128 v[4:7], v133 offset:9600
	ds_load_b128 v[8:11], v133 offset:10400
	s_wait_loadcnt_dscnt 0x1
	v_mul_f64_e32 v[12:13], v[6:7], v[2:3]
	v_mul_f64_e32 v[2:3], v[4:5], v[2:3]
	s_delay_alu instid0(VALU_DEP_2) | instskip(NEXT) | instid1(VALU_DEP_2)
	v_fma_f64 v[4:5], v[4:5], v[0:1], v[12:13]
	v_fma_f64 v[2:3], v[0:1], v[6:7], -v[2:3]
	s_delay_alu instid0(VALU_DEP_2) | instskip(NEXT) | instid1(VALU_DEP_2)
	v_mul_f64_e32 v[0:1], s[2:3], v[4:5]
	v_mul_f64_e32 v[2:3], s[2:3], v[2:3]
	v_add_co_u32 v4, vcc_lo, v58, s0
	s_wait_alu 0xfffd
	v_add_co_ci_u32_e32 v5, vcc_lo, s1, v59, vcc_lo
	s_delay_alu instid0(VALU_DEP_2) | instskip(SKIP_1) | instid1(VALU_DEP_2)
	v_add_co_u32 v12, vcc_lo, v4, s0
	s_wait_alu 0xfffd
	v_add_co_ci_u32_e32 v13, vcc_lo, s1, v5, vcc_lo
	global_store_b128 v[4:5], v[0:3], off
	global_load_b128 v[0:3], v133, s[8:9] offset:10400
	s_wait_loadcnt_dscnt 0x0
	v_mul_f64_e32 v[6:7], v[10:11], v[2:3]
	v_mul_f64_e32 v[2:3], v[8:9], v[2:3]
	s_delay_alu instid0(VALU_DEP_2) | instskip(NEXT) | instid1(VALU_DEP_2)
	v_fma_f64 v[6:7], v[8:9], v[0:1], v[6:7]
	v_fma_f64 v[2:3], v[0:1], v[10:11], -v[2:3]
	s_delay_alu instid0(VALU_DEP_2) | instskip(NEXT) | instid1(VALU_DEP_2)
	v_mul_f64_e32 v[0:1], s[2:3], v[6:7]
	v_mul_f64_e32 v[2:3], s[2:3], v[2:3]
	global_store_b128 v[12:13], v[0:3], off
	global_load_b128 v[0:3], v133, s[8:9] offset:11200
	ds_load_b128 v[4:7], v133 offset:11200
	ds_load_b128 v[8:11], v133 offset:12000
	s_wait_loadcnt_dscnt 0x1
	v_mul_f64_e32 v[14:15], v[6:7], v[2:3]
	v_mul_f64_e32 v[2:3], v[4:5], v[2:3]
	s_delay_alu instid0(VALU_DEP_2) | instskip(NEXT) | instid1(VALU_DEP_2)
	v_fma_f64 v[4:5], v[4:5], v[0:1], v[14:15]
	v_fma_f64 v[2:3], v[0:1], v[6:7], -v[2:3]
	s_delay_alu instid0(VALU_DEP_2) | instskip(NEXT) | instid1(VALU_DEP_2)
	v_mul_f64_e32 v[0:1], s[2:3], v[4:5]
	v_mul_f64_e32 v[2:3], s[2:3], v[2:3]
	v_add_co_u32 v4, vcc_lo, v12, s0
	s_wait_alu 0xfffd
	v_add_co_ci_u32_e32 v5, vcc_lo, s1, v13, vcc_lo
	global_store_b128 v[4:5], v[0:3], off
	global_load_b128 v[0:3], v133, s[8:9] offset:12000
	v_add_co_u32 v4, vcc_lo, v4, s0
	s_wait_alu 0xfffd
	v_add_co_ci_u32_e32 v5, vcc_lo, s1, v5, vcc_lo
	s_wait_loadcnt_dscnt 0x0
	v_mul_f64_e32 v[6:7], v[10:11], v[2:3]
	v_mul_f64_e32 v[2:3], v[8:9], v[2:3]
	s_delay_alu instid0(VALU_DEP_2) | instskip(NEXT) | instid1(VALU_DEP_2)
	v_fma_f64 v[6:7], v[8:9], v[0:1], v[6:7]
	v_fma_f64 v[2:3], v[0:1], v[10:11], -v[2:3]
	s_delay_alu instid0(VALU_DEP_2) | instskip(NEXT) | instid1(VALU_DEP_2)
	v_mul_f64_e32 v[0:1], s[2:3], v[6:7]
	v_mul_f64_e32 v[2:3], s[2:3], v[2:3]
	global_store_b128 v[4:5], v[0:3], off
.LBB0_23:
	s_nop 0
	s_sendmsg sendmsg(MSG_DEALLOC_VGPRS)
	s_endpgm
	.section	.rodata,"a",@progbits
	.p2align	6, 0x0
	.amdhsa_kernel bluestein_single_back_len800_dim1_dp_op_CI_CI
		.amdhsa_group_segment_fixed_size 12800
		.amdhsa_private_segment_fixed_size 0
		.amdhsa_kernarg_size 104
		.amdhsa_user_sgpr_count 2
		.amdhsa_user_sgpr_dispatch_ptr 0
		.amdhsa_user_sgpr_queue_ptr 0
		.amdhsa_user_sgpr_kernarg_segment_ptr 1
		.amdhsa_user_sgpr_dispatch_id 0
		.amdhsa_user_sgpr_private_segment_size 0
		.amdhsa_wavefront_size32 1
		.amdhsa_uses_dynamic_stack 0
		.amdhsa_enable_private_segment 0
		.amdhsa_system_sgpr_workgroup_id_x 1
		.amdhsa_system_sgpr_workgroup_id_y 0
		.amdhsa_system_sgpr_workgroup_id_z 0
		.amdhsa_system_sgpr_workgroup_info 0
		.amdhsa_system_vgpr_workitem_id 0
		.amdhsa_next_free_vgpr 195
		.amdhsa_next_free_sgpr 26
		.amdhsa_reserve_vcc 1
		.amdhsa_float_round_mode_32 0
		.amdhsa_float_round_mode_16_64 0
		.amdhsa_float_denorm_mode_32 3
		.amdhsa_float_denorm_mode_16_64 3
		.amdhsa_fp16_overflow 0
		.amdhsa_workgroup_processor_mode 1
		.amdhsa_memory_ordered 1
		.amdhsa_forward_progress 0
		.amdhsa_round_robin_scheduling 0
		.amdhsa_exception_fp_ieee_invalid_op 0
		.amdhsa_exception_fp_denorm_src 0
		.amdhsa_exception_fp_ieee_div_zero 0
		.amdhsa_exception_fp_ieee_overflow 0
		.amdhsa_exception_fp_ieee_underflow 0
		.amdhsa_exception_fp_ieee_inexact 0
		.amdhsa_exception_int_div_zero 0
	.end_amdhsa_kernel
	.text
.Lfunc_end0:
	.size	bluestein_single_back_len800_dim1_dp_op_CI_CI, .Lfunc_end0-bluestein_single_back_len800_dim1_dp_op_CI_CI
                                        ; -- End function
	.section	.AMDGPU.csdata,"",@progbits
; Kernel info:
; codeLenInByte = 12320
; NumSgprs: 28
; NumVgprs: 195
; ScratchSize: 0
; MemoryBound: 0
; FloatMode: 240
; IeeeMode: 1
; LDSByteSize: 12800 bytes/workgroup (compile time only)
; SGPRBlocks: 3
; VGPRBlocks: 24
; NumSGPRsForWavesPerEU: 28
; NumVGPRsForWavesPerEU: 195
; Occupancy: 7
; WaveLimiterHint : 1
; COMPUTE_PGM_RSRC2:SCRATCH_EN: 0
; COMPUTE_PGM_RSRC2:USER_SGPR: 2
; COMPUTE_PGM_RSRC2:TRAP_HANDLER: 0
; COMPUTE_PGM_RSRC2:TGID_X_EN: 1
; COMPUTE_PGM_RSRC2:TGID_Y_EN: 0
; COMPUTE_PGM_RSRC2:TGID_Z_EN: 0
; COMPUTE_PGM_RSRC2:TIDIG_COMP_CNT: 0
	.text
	.p2alignl 7, 3214868480
	.fill 96, 4, 3214868480
	.type	__hip_cuid_eeba16bd66e6d51d,@object ; @__hip_cuid_eeba16bd66e6d51d
	.section	.bss,"aw",@nobits
	.globl	__hip_cuid_eeba16bd66e6d51d
__hip_cuid_eeba16bd66e6d51d:
	.byte	0                               ; 0x0
	.size	__hip_cuid_eeba16bd66e6d51d, 1

	.ident	"AMD clang version 19.0.0git (https://github.com/RadeonOpenCompute/llvm-project roc-6.4.0 25133 c7fe45cf4b819c5991fe208aaa96edf142730f1d)"
	.section	".note.GNU-stack","",@progbits
	.addrsig
	.addrsig_sym __hip_cuid_eeba16bd66e6d51d
	.amdgpu_metadata
---
amdhsa.kernels:
  - .args:
      - .actual_access:  read_only
        .address_space:  global
        .offset:         0
        .size:           8
        .value_kind:     global_buffer
      - .actual_access:  read_only
        .address_space:  global
        .offset:         8
        .size:           8
        .value_kind:     global_buffer
      - .actual_access:  read_only
        .address_space:  global
        .offset:         16
        .size:           8
        .value_kind:     global_buffer
      - .actual_access:  read_only
        .address_space:  global
        .offset:         24
        .size:           8
        .value_kind:     global_buffer
      - .actual_access:  read_only
        .address_space:  global
        .offset:         32
        .size:           8
        .value_kind:     global_buffer
      - .offset:         40
        .size:           8
        .value_kind:     by_value
      - .address_space:  global
        .offset:         48
        .size:           8
        .value_kind:     global_buffer
      - .address_space:  global
        .offset:         56
        .size:           8
        .value_kind:     global_buffer
      - .address_space:  global
        .offset:         64
        .size:           8
        .value_kind:     global_buffer
      - .address_space:  global
        .offset:         72
        .size:           8
        .value_kind:     global_buffer
      - .offset:         80
        .size:           4
        .value_kind:     by_value
      - .address_space:  global
        .offset:         88
        .size:           8
        .value_kind:     global_buffer
      - .address_space:  global
        .offset:         96
        .size:           8
        .value_kind:     global_buffer
    .group_segment_fixed_size: 12800
    .kernarg_segment_align: 8
    .kernarg_segment_size: 104
    .language:       OpenCL C
    .language_version:
      - 2
      - 0
    .max_flat_workgroup_size: 160
    .name:           bluestein_single_back_len800_dim1_dp_op_CI_CI
    .private_segment_fixed_size: 0
    .sgpr_count:     28
    .sgpr_spill_count: 0
    .symbol:         bluestein_single_back_len800_dim1_dp_op_CI_CI.kd
    .uniform_work_group_size: 1
    .uses_dynamic_stack: false
    .vgpr_count:     195
    .vgpr_spill_count: 0
    .wavefront_size: 32
    .workgroup_processor_mode: 1
amdhsa.target:   amdgcn-amd-amdhsa--gfx1201
amdhsa.version:
  - 1
  - 2
...

	.end_amdgpu_metadata
